;; amdgpu-corpus repo=ROCm/rocFFT kind=compiled arch=gfx950 opt=O3
	.text
	.amdgcn_target "amdgcn-amd-amdhsa--gfx950"
	.amdhsa_code_object_version 6
	.protected	bluestein_single_back_len486_dim1_sp_op_CI_CI ; -- Begin function bluestein_single_back_len486_dim1_sp_op_CI_CI
	.globl	bluestein_single_back_len486_dim1_sp_op_CI_CI
	.p2align	8
	.type	bluestein_single_back_len486_dim1_sp_op_CI_CI,@function
bluestein_single_back_len486_dim1_sp_op_CI_CI: ; @bluestein_single_back_len486_dim1_sp_op_CI_CI
; %bb.0:
	s_load_dwordx4 s[8:11], s[0:1], 0x28
	v_mul_u32_u24_e32 v1, 0x195, v0
	v_add_u32_sdwa v28, s2, v1 dst_sel:DWORD dst_unused:UNUSED_PAD src0_sel:DWORD src1_sel:WORD_1
	v_mov_b32_e32 v29, 0
	s_waitcnt lgkmcnt(0)
	v_cmp_gt_u64_e32 vcc, s[8:9], v[28:29]
	s_and_saveexec_b64 s[2:3], vcc
	s_cbranch_execz .LBB0_15
; %bb.1:
	s_load_dwordx2 s[8:9], s[0:1], 0x0
	s_load_dwordx2 s[12:13], s[0:1], 0x38
	s_movk_i32 s2, 0xa2
	v_mul_lo_u16_sdwa v1, v1, s2 dst_sel:DWORD dst_unused:UNUSED_PAD src0_sel:WORD_1 src1_sel:DWORD
	v_sub_u16_e32 v29, v0, v1
	s_movk_i32 s2, 0x51
	v_cmp_gt_u16_e32 vcc, s2, v29
	v_lshlrev_b32_e32 v46, 3, v29
	s_and_saveexec_b64 s[2:3], vcc
	s_cbranch_execz .LBB0_3
; %bb.2:
	s_load_dwordx2 s[4:5], s[0:1], 0x18
	v_mov_b32_e32 v0, s10
	v_mov_b32_e32 v1, s11
	;; [unrolled: 1-line block ×3, first 2 shown]
	s_waitcnt lgkmcnt(0)
	s_load_dwordx4 s[4:7], s[4:5], 0x0
	s_waitcnt lgkmcnt(0)
	v_mad_u64_u32 v[2:3], s[10:11], s6, v28, 0
	v_mad_u64_u32 v[4:5], s[10:11], s4, v29, 0
	v_mov_b32_e32 v6, v3
	v_mov_b32_e32 v8, v5
	v_mad_u64_u32 v[6:7], s[6:7], s7, v28, v[6:7]
	v_mov_b32_e32 v3, v6
	v_mad_u64_u32 v[6:7], s[6:7], s5, v29, v[8:9]
	v_mov_b32_e32 v5, v6
	v_lshl_add_u64 v[0:1], v[2:3], 3, v[0:1]
	v_lshl_add_u64 v[0:1], v[4:5], 3, v[0:1]
	global_load_dwordx2 v[2:3], v[0:1], off
	v_mad_u64_u32 v[0:1], s[6:7], s4, v22, v[0:1]
	s_mul_i32 s10, s5, 0x288
	v_add_u32_e32 v1, s10, v1
	v_mad_u64_u32 v[8:9], s[6:7], s4, v22, v[0:1]
	v_add_u32_e32 v9, s10, v9
	global_load_dwordx2 v[4:5], v46, s[8:9]
	global_load_dwordx2 v[6:7], v46, s[8:9] offset:648
	global_load_dwordx2 v[10:11], v[8:9], off
	v_mad_u64_u32 v[8:9], s[6:7], s4, v22, v[8:9]
	global_load_dwordx2 v[0:1], v[0:1], off
	v_add_u32_e32 v9, s10, v9
	global_load_dwordx2 v[12:13], v46, s[8:9] offset:1296
	global_load_dwordx2 v[14:15], v46, s[8:9] offset:1944
	global_load_dwordx2 v[16:17], v[8:9], off
	v_mad_u64_u32 v[8:9], s[6:7], s4, v22, v[8:9]
	v_add_u32_e32 v9, s10, v9
	global_load_dwordx2 v[18:19], v[8:9], off
	global_load_dwordx2 v[20:21], v46, s[8:9] offset:2592
	v_mad_u64_u32 v[8:9], s[4:5], s4, v22, v[8:9]
	v_add_u32_e32 v9, s10, v9
	global_load_dwordx2 v[22:23], v46, s[8:9] offset:3240
	global_load_dwordx2 v[24:25], v[8:9], off
	s_waitcnt vmcnt(10)
	v_mul_f32_e32 v8, v3, v5
	v_mul_f32_e32 v5, v2, v5
	v_fmac_f32_e32 v8, v2, v4
	v_fma_f32 v9, v3, v4, -v5
	v_add_u32_e32 v4, 0x800, v46
	s_waitcnt vmcnt(7)
	v_mul_f32_e32 v2, v1, v7
	v_mul_f32_e32 v3, v0, v7
	v_fmac_f32_e32 v2, v0, v6
	v_fma_f32 v3, v1, v6, -v3
	ds_write2_b64 v46, v[8:9], v[2:3] offset1:81
	s_waitcnt vmcnt(6)
	v_mul_f32_e32 v0, v11, v13
	v_mul_f32_e32 v1, v10, v13
	s_waitcnt vmcnt(4)
	v_mul_f32_e32 v2, v17, v15
	v_mul_f32_e32 v3, v16, v15
	v_fmac_f32_e32 v0, v10, v12
	v_fma_f32 v1, v11, v12, -v1
	v_fmac_f32_e32 v2, v16, v14
	v_fma_f32 v3, v17, v14, -v3
	ds_write2_b64 v46, v[0:1], v[2:3] offset0:162 offset1:243
	s_waitcnt vmcnt(2)
	v_mul_f32_e32 v0, v19, v21
	v_mul_f32_e32 v1, v18, v21
	s_waitcnt vmcnt(0)
	v_mul_f32_e32 v2, v25, v23
	v_mul_f32_e32 v3, v24, v23
	v_fmac_f32_e32 v0, v18, v20
	v_fma_f32 v1, v19, v20, -v1
	v_fmac_f32_e32 v2, v24, v22
	v_fma_f32 v3, v25, v22, -v3
	ds_write2_b64 v4, v[0:1], v[2:3] offset0:68 offset1:149
.LBB0_3:
	s_or_b64 exec, exec, s[2:3]
	s_load_dwordx2 s[2:3], s[0:1], 0x20
	s_load_dwordx2 s[4:5], s[0:1], 0x8
	s_waitcnt lgkmcnt(0)
	s_barrier
	s_waitcnt lgkmcnt(0)
                                        ; implicit-def: $vgpr0
                                        ; implicit-def: $vgpr8
                                        ; implicit-def: $vgpr4
	s_and_saveexec_b64 s[0:1], vcc
	s_cbranch_execz .LBB0_5
; %bb.4:
	v_add_u32_e32 v4, 0x800, v46
	ds_read2_b64 v[0:3], v46 offset1:81
	ds_read2_b64 v[8:11], v46 offset0:162 offset1:243
	ds_read2_b64 v[4:7], v4 offset0:68 offset1:149
.LBB0_5:
	s_or_b64 exec, exec, s[0:1]
	s_waitcnt lgkmcnt(1)
	v_pk_add_f32 v[12:13], v[0:1], v[8:9]
	s_waitcnt lgkmcnt(0)
	v_pk_add_f32 v[14:15], v[8:9], v[4:5]
	v_pk_add_f32 v[8:9], v[8:9], v[4:5] neg_lo:[0,1] neg_hi:[0,1]
	s_mov_b32 s6, 0x3f5db3d7
	v_pk_add_f32 v[18:19], v[10:11], v[6:7]
	v_pk_fma_f32 v[0:1], v[14:15], 0.5, v[0:1] op_sel_hi:[1,0,1] neg_lo:[1,0,0] neg_hi:[1,0,0]
	v_pk_mul_f32 v[8:9], v[8:9], s[6:7] op_sel_hi:[1,0]
	v_pk_add_f32 v[16:17], v[2:3], v[10:11]
	v_pk_add_f32 v[10:11], v[10:11], v[6:7] neg_lo:[0,1] neg_hi:[0,1]
	v_pk_add_f32 v[14:15], v[0:1], v[8:9] op_sel:[0,1] op_sel_hi:[1,0]
	v_pk_add_f32 v[0:1], v[0:1], v[8:9] op_sel:[0,1] op_sel_hi:[1,0] neg_lo:[0,1] neg_hi:[0,1]
	v_pk_fma_f32 v[8:9], v[18:19], 0.5, v[2:3] op_sel_hi:[1,0,1] neg_lo:[1,0,0] neg_hi:[1,0,0]
	v_pk_add_f32 v[4:5], v[12:13], v[4:5]
	v_mov_b32_e32 v12, v14
	v_mov_b32_e32 v13, v1
	;; [unrolled: 1-line block ×3, first 2 shown]
	v_pk_fma_f32 v[14:15], v[10:11], s[6:7], v[8:9] op_sel:[0,0,1] op_sel_hi:[1,0,0]
	s_mov_b32 s0, 0.5
	s_mov_b32 s1, s6
	v_pk_add_f32 v[2:3], v[16:17], v[6:7]
	v_pk_fma_f32 v[6:7], v[10:11], s[6:7], v[8:9] op_sel:[0,0,1] op_sel_hi:[1,0,0] neg_lo:[1,0,0] neg_hi:[1,0,0]
	v_pk_mul_f32 v[10:11], v[14:15], s[0:1] op_sel:[1,0]
	s_mov_b32 s7, s0
	v_mov_b32_e32 v8, v14
	v_mov_b32_e32 v9, v7
	v_pk_fma_f32 v[16:17], v[6:7], s[6:7], v[10:11]
	v_pk_fma_f32 v[6:7], v[6:7], s[6:7], v[10:11] op_sel_hi:[0,1,1] neg_lo:[0,0,1] neg_hi:[0,0,1]
	v_mov_b32_e32 v17, v7
	s_mov_b32 s7, 0xbf5db3d7
	v_pk_mul_f32 v[6:7], v[8:9], 0.5 op_sel_hi:[1,0]
	v_mul_lo_u16_e32 v48, 6, v29
	v_pk_fma_f32 v[14:15], v[8:9], s[6:7], v[6:7] op_sel:[0,0,1] op_sel_hi:[1,1,0] neg_lo:[0,0,1] neg_hi:[0,0,1]
	v_pk_add_f32 v[6:7], v[4:5], v[2:3] neg_lo:[0,1] neg_hi:[0,1]
	v_pk_add_f32 v[8:9], v[12:13], v[16:17] neg_lo:[0,1] neg_hi:[0,1]
	;; [unrolled: 1-line block ×3, first 2 shown]
	s_barrier
	s_and_saveexec_b64 s[0:1], vcc
	s_cbranch_execz .LBB0_7
; %bb.6:
	v_lshlrev_b32_e32 v18, 3, v48
	v_pk_add_f32 v[2:3], v[4:5], v[2:3]
	v_pk_add_f32 v[4:5], v[12:13], v[16:17]
	ds_write_b128 v18, v[2:5]
	v_pk_add_f32 v[4:5], v[0:1], v[14:15]
	ds_write_b128 v18, v[4:7] offset:16
	ds_write_b128 v18, v[8:11] offset:32
.LBB0_7:
	s_or_b64 exec, exec, s[0:1]
	s_movk_i32 s7, 0xab
	v_mul_lo_u16_sdwa v0, v29, s7 dst_sel:DWORD dst_unused:UNUSED_PAD src0_sel:BYTE_0 src1_sel:DWORD
	v_lshrrev_b16_e32 v16, 10, v0
	v_mul_lo_u16_e32 v0, 6, v16
	v_sub_u16_e32 v0, v29, v0
	v_and_b32_e32 v17, 0xff, v0
	v_lshlrev_b32_e32 v0, 4, v17
	s_load_dwordx4 s[0:3], s[2:3], 0x0
	s_waitcnt lgkmcnt(0)
	s_barrier
	global_load_dwordx4 v[0:3], v0, s[4:5]
	v_mov_b32_e32 v18, 57
	ds_read2_b64 v[12:15], v46 offset1:162
	ds_read_b64 v[4:5], v46 offset:2592
	v_mul_lo_u16_sdwa v18, v29, v18 dst_sel:DWORD dst_unused:UNUSED_PAD src0_sel:BYTE_0 src1_sel:DWORD
	v_lshrrev_b16_e32 v19, 10, v18
	v_mul_lo_u16_e32 v18, 18, v19
	v_mul_u32_u24_e32 v16, 18, v16
	v_sub_u16_e32 v18, v29, v18
	v_and_b32_e32 v22, 0xff, v18
	v_add_lshl_u32 v47, v16, v17, 3
	v_lshlrev_b32_e32 v23, 4, v22
	s_waitcnt lgkmcnt(0)
	s_barrier
	s_waitcnt vmcnt(0)
	v_pk_mul_f32 v[16:17], v[14:15], v[0:1] op_sel:[0,1]
	v_mov_b32_e32 v18, v3
	v_pk_fma_f32 v[20:21], v[14:15], v[0:1], v[16:17] op_sel:[0,0,1] op_sel_hi:[1,1,0] neg_lo:[0,0,1] neg_hi:[0,0,1]
	v_pk_fma_f32 v[14:15], v[14:15], v[0:1], v[16:17] op_sel:[0,0,1] op_sel_hi:[1,0,0]
	v_pk_mul_f32 v[16:17], v[4:5], v[18:19] op_sel_hi:[1,0]
	v_mov_b32_e32 v21, v15
	v_pk_fma_f32 v[14:15], v[4:5], v[2:3], v[16:17] op_sel:[0,0,1] op_sel_hi:[1,1,0] neg_lo:[0,0,1] neg_hi:[0,0,1]
	v_pk_fma_f32 v[4:5], v[4:5], v[2:3], v[16:17] op_sel:[0,0,1] op_sel_hi:[1,0,0]
	s_nop 0
	v_mov_b32_e32 v15, v5
	v_pk_add_f32 v[4:5], v[12:13], v[20:21]
	v_pk_add_f32 v[16:17], v[20:21], v[14:15]
	;; [unrolled: 1-line block ×3, first 2 shown]
	v_pk_add_f32 v[14:15], v[20:21], v[14:15] neg_lo:[0,1] neg_hi:[0,1]
	v_pk_fma_f32 v[12:13], v[16:17], 0.5, v[12:13] op_sel_hi:[1,0,1] neg_lo:[1,0,0] neg_hi:[1,0,0]
	v_pk_mul_f32 v[14:15], v[14:15], s[6:7] op_sel_hi:[1,0]
	s_nop 0
	v_pk_add_f32 v[16:17], v[12:13], v[14:15] op_sel:[0,1] op_sel_hi:[1,0]
	v_pk_add_f32 v[12:13], v[12:13], v[14:15] op_sel:[0,1] op_sel_hi:[1,0] neg_lo:[0,1] neg_hi:[0,1]
	v_mov_b32_e32 v14, v16
	v_mov_b32_e32 v15, v13
	;; [unrolled: 1-line block ×3, first 2 shown]
	ds_write2_b64 v47, v[4:5], v[14:15] offset1:6
	ds_write_b64 v47, v[12:13] offset:96
	s_waitcnt lgkmcnt(0)
	s_barrier
	global_load_dwordx4 v[12:15], v23, s[4:5] offset:96
	v_mov_b32_e32 v4, 19
	v_mul_lo_u16_sdwa v4, v29, v4 dst_sel:DWORD dst_unused:UNUSED_PAD src0_sel:BYTE_0 src1_sel:DWORD
	v_lshrrev_b16_e32 v23, 10, v4
	v_mul_lo_u16_e32 v5, 54, v23
	v_mul_u32_u24_e32 v4, 54, v19
	v_sub_u16_e32 v5, v29, v5
	v_and_b32_e32 v26, 0xff, v5
	v_add_lshl_u32 v49, v4, v22, 3
	ds_read2_b64 v[16:19], v46 offset1:162
	ds_read_b64 v[4:5], v46 offset:2592
	v_lshlrev_b32_e32 v27, 4, v26
	s_waitcnt lgkmcnt(0)
	s_barrier
	s_waitcnt vmcnt(0)
	v_pk_mul_f32 v[20:21], v[18:19], v[12:13] op_sel:[0,1]
	v_mov_b32_e32 v22, v15
	v_pk_fma_f32 v[24:25], v[18:19], v[12:13], v[20:21] op_sel:[0,0,1] op_sel_hi:[1,1,0] neg_lo:[0,0,1] neg_hi:[0,0,1]
	v_pk_fma_f32 v[18:19], v[18:19], v[12:13], v[20:21] op_sel:[0,0,1] op_sel_hi:[1,0,0]
	v_pk_mul_f32 v[20:21], v[4:5], v[22:23] op_sel_hi:[1,0]
	v_mov_b32_e32 v25, v19
	v_pk_fma_f32 v[18:19], v[4:5], v[14:15], v[20:21] op_sel:[0,0,1] op_sel_hi:[1,1,0] neg_lo:[0,0,1] neg_hi:[0,0,1]
	v_pk_fma_f32 v[4:5], v[4:5], v[14:15], v[20:21] op_sel:[0,0,1] op_sel_hi:[1,0,0]
	s_nop 0
	v_mov_b32_e32 v19, v5
	v_pk_add_f32 v[4:5], v[16:17], v[24:25]
	v_pk_add_f32 v[20:21], v[24:25], v[18:19]
	;; [unrolled: 1-line block ×3, first 2 shown]
	v_pk_add_f32 v[18:19], v[24:25], v[18:19] neg_lo:[0,1] neg_hi:[0,1]
	v_pk_fma_f32 v[16:17], v[20:21], 0.5, v[16:17] op_sel_hi:[1,0,1] neg_lo:[1,0,0] neg_hi:[1,0,0]
	v_pk_mul_f32 v[18:19], v[18:19], s[6:7] op_sel_hi:[1,0]
	s_nop 0
	v_pk_add_f32 v[20:21], v[16:17], v[18:19] op_sel:[0,1] op_sel_hi:[1,0]
	v_pk_add_f32 v[16:17], v[16:17], v[18:19] op_sel:[0,1] op_sel_hi:[1,0] neg_lo:[0,1] neg_hi:[0,1]
	v_mov_b32_e32 v18, v20
	v_mov_b32_e32 v19, v17
	;; [unrolled: 1-line block ×3, first 2 shown]
	ds_write2_b64 v49, v[4:5], v[18:19] offset1:18
	ds_write_b64 v49, v[16:17] offset:288
	s_waitcnt lgkmcnt(0)
	s_barrier
	global_load_dwordx4 v[16:19], v27, s[4:5] offset:384
	v_mul_u32_u24_e32 v4, 0xa2, v23
	v_add_lshl_u32 v50, v4, v26, 3
	ds_read2_b64 v[20:23], v46 offset1:162
	ds_read_b64 v[4:5], v46 offset:2592
	v_lshlrev_b32_e32 v27, 4, v29
	s_waitcnt lgkmcnt(0)
	s_barrier
	s_waitcnt vmcnt(0)
	v_pk_mul_f32 v[24:25], v[22:23], v[16:17] op_sel:[0,1]
	v_mov_b32_e32 v26, v19
	v_pk_fma_f32 v[30:31], v[22:23], v[16:17], v[24:25] op_sel:[0,0,1] op_sel_hi:[1,1,0] neg_lo:[0,0,1] neg_hi:[0,0,1]
	v_pk_fma_f32 v[22:23], v[22:23], v[16:17], v[24:25] op_sel:[0,0,1] op_sel_hi:[1,0,0]
	v_pk_mul_f32 v[24:25], v[4:5], v[26:27] op_sel_hi:[1,0]
	v_mov_b32_e32 v31, v23
	v_pk_fma_f32 v[22:23], v[4:5], v[18:19], v[24:25] op_sel:[0,0,1] op_sel_hi:[1,1,0] neg_lo:[0,0,1] neg_hi:[0,0,1]
	v_pk_fma_f32 v[4:5], v[4:5], v[18:19], v[24:25] op_sel:[0,0,1] op_sel_hi:[1,0,0]
	s_nop 0
	v_mov_b32_e32 v23, v5
	v_pk_add_f32 v[4:5], v[20:21], v[30:31]
	v_pk_add_f32 v[24:25], v[30:31], v[22:23]
	;; [unrolled: 1-line block ×3, first 2 shown]
	v_pk_add_f32 v[22:23], v[30:31], v[22:23] neg_lo:[0,1] neg_hi:[0,1]
	v_pk_fma_f32 v[20:21], v[24:25], 0.5, v[20:21] op_sel_hi:[1,0,1] neg_lo:[1,0,0] neg_hi:[1,0,0]
	v_pk_mul_f32 v[22:23], v[22:23], s[6:7] op_sel_hi:[1,0]
	s_nop 0
	v_pk_add_f32 v[24:25], v[20:21], v[22:23] op_sel:[0,1] op_sel_hi:[1,0]
	v_pk_add_f32 v[20:21], v[20:21], v[22:23] op_sel:[0,1] op_sel_hi:[1,0] neg_lo:[0,1] neg_hi:[0,1]
	v_mov_b32_e32 v22, v24
	v_mov_b32_e32 v23, v21
	;; [unrolled: 1-line block ×3, first 2 shown]
	ds_write2_b64 v50, v[4:5], v[22:23] offset1:54
	ds_write_b64 v50, v[20:21] offset:864
	s_waitcnt lgkmcnt(0)
	s_barrier
	global_load_dwordx4 v[20:23], v27, s[4:5] offset:1248
	ds_read2_b64 v[30:33], v46 offset1:162
	ds_read_b64 v[4:5], v46 offset:2592
	s_waitcnt vmcnt(0) lgkmcnt(1)
	v_pk_mul_f32 v[24:25], v[32:33], v[20:21] op_sel:[0,1]
	v_mov_b32_e32 v26, v23
	v_pk_fma_f32 v[34:35], v[32:33], v[20:21], v[24:25] op_sel:[0,0,1] op_sel_hi:[1,1,0] neg_lo:[0,0,1] neg_hi:[0,0,1]
	v_pk_fma_f32 v[24:25], v[32:33], v[20:21], v[24:25] op_sel:[0,0,1] op_sel_hi:[1,0,0]
	s_waitcnt lgkmcnt(0)
	v_pk_mul_f32 v[26:27], v[4:5], v[26:27] op_sel_hi:[1,0]
	v_mov_b32_e32 v35, v25
	v_pk_fma_f32 v[32:33], v[4:5], v[22:23], v[26:27] op_sel:[0,0,1] op_sel_hi:[1,1,0] neg_lo:[0,0,1] neg_hi:[0,0,1]
	v_pk_fma_f32 v[4:5], v[4:5], v[22:23], v[26:27] op_sel:[0,0,1] op_sel_hi:[1,0,0]
	s_nop 0
	v_mov_b32_e32 v33, v5
	v_pk_add_f32 v[4:5], v[30:31], v[34:35]
	v_pk_add_f32 v[26:27], v[34:35], v[32:33] neg_lo:[0,1] neg_hi:[0,1]
	v_pk_add_f32 v[24:25], v[4:5], v[32:33]
	v_pk_add_f32 v[4:5], v[34:35], v[32:33]
	v_pk_mul_f32 v[26:27], v[26:27], s[6:7] op_sel_hi:[1,0]
	v_pk_fma_f32 v[4:5], v[4:5], 0.5, v[30:31] op_sel_hi:[1,0,1] neg_lo:[1,0,0] neg_hi:[1,0,0]
	s_nop 0
	v_pk_add_f32 v[30:31], v[4:5], v[26:27] op_sel:[0,1] op_sel_hi:[1,0]
	v_pk_add_f32 v[4:5], v[4:5], v[26:27] op_sel:[0,1] op_sel_hi:[1,0] neg_lo:[0,1] neg_hi:[0,1]
	v_mov_b32_e32 v26, v30
	v_mov_b32_e32 v27, v5
	;; [unrolled: 1-line block ×3, first 2 shown]
	ds_write2_b64 v46, v[24:25], v[26:27] offset1:162
	ds_write_b64 v46, v[4:5] offset:2592
	s_waitcnt lgkmcnt(0)
	s_barrier
	s_and_saveexec_b64 s[4:5], vcc
	s_cbranch_execz .LBB0_9
; %bb.8:
	global_load_dwordx2 v[30:31], v46, s[8:9] offset:3888
	s_add_u32 s6, s8, 0xf30
	s_addc_u32 s7, s9, 0
	global_load_dwordx2 v[32:33], v46, s[6:7] offset:648
	global_load_dwordx2 v[34:35], v46, s[6:7] offset:1296
	;; [unrolled: 1-line block ×5, first 2 shown]
	ds_read_b64 v[42:43], v46
	ds_read_b64 v[44:45], v46 offset:648
	ds_read_b64 v[52:53], v46 offset:1296
	;; [unrolled: 1-line block ×5, first 2 shown]
	s_waitcnt vmcnt(5) lgkmcnt(5)
	v_mul_f32_e32 v51, v43, v31
	v_mul_f32_e32 v61, v42, v31
	v_fma_f32 v60, v42, v30, -v51
	v_fmac_f32_e32 v61, v43, v30
	s_waitcnt vmcnt(4) lgkmcnt(4)
	v_mul_f32_e32 v30, v45, v33
	v_mul_f32_e32 v31, v44, v33
	ds_write_b64 v46, v[60:61]
	s_waitcnt vmcnt(3) lgkmcnt(4)
	v_mul_f32_e32 v42, v53, v35
	v_mul_f32_e32 v33, v52, v35
	s_waitcnt vmcnt(2) lgkmcnt(3)
	v_mul_f32_e32 v43, v55, v37
	v_mul_f32_e32 v35, v54, v37
	;; [unrolled: 3-line block ×4, first 2 shown]
	v_fma_f32 v30, v44, v32, -v30
	v_fmac_f32_e32 v31, v45, v32
	v_fma_f32 v32, v52, v34, -v42
	v_fmac_f32_e32 v33, v53, v34
	;; [unrolled: 2-line block ×5, first 2 shown]
	ds_write_b64 v46, v[30:31] offset:648
	ds_write_b64 v46, v[32:33] offset:1296
	;; [unrolled: 1-line block ×5, first 2 shown]
.LBB0_9:
	s_or_b64 exec, exec, s[4:5]
	s_waitcnt lgkmcnt(0)
	s_barrier
	s_and_saveexec_b64 s[4:5], vcc
	s_cbranch_execz .LBB0_11
; %bb.10:
	v_add_u32_e32 v8, 0x800, v46
	ds_read2_b64 v[24:27], v46 offset1:81
	ds_read2_b64 v[4:7], v46 offset0:162 offset1:243
	ds_read2_b64 v[8:11], v8 offset0:68 offset1:149
.LBB0_11:
	s_or_b64 exec, exec, s[4:5]
	v_mov_b32_e32 v44, v0
	v_mov_b32_e32 v45, v0
	;; [unrolled: 1-line block ×24, first 2 shown]
	s_waitcnt lgkmcnt(0)
	s_barrier
	s_and_saveexec_b64 s[4:5], vcc
	s_cbranch_execz .LBB0_13
; %bb.12:
	v_pk_add_f32 v[52:53], v[6:7], v[10:11]
	v_mov_b32_e32 v54, v26
	v_mov_b32_e32 v58, v27
	v_fmac_f32_e32 v54, -0.5, v52
	v_pk_add_f32 v[56:57], v[6:7], v[10:11] neg_lo:[0,1] neg_hi:[0,1]
	v_fmac_f32_e32 v58, -0.5, v53
	v_fmamk_f32 v52, v57, 0x3f5db3d7, v54
	v_fmamk_f32 v60, v56, 0xbf5db3d7, v58
	v_fmac_f32_e32 v54, 0xbf5db3d7, v57
	v_fmac_f32_e32 v58, 0x3f5db3d7, v56
	v_pk_add_f32 v[56:57], v[24:25], v[4:5]
	s_mov_b32 s10, 0x3f5db3d7
	v_pk_add_f32 v[6:7], v[26:27], v[6:7]
	v_pk_add_f32 v[26:27], v[56:57], v[8:9]
	;; [unrolled: 1-line block ×3, first 2 shown]
	v_pk_add_f32 v[4:5], v[4:5], v[8:9] neg_lo:[0,1] neg_hi:[0,1]
	s_mov_b32 s14, 0.5
	v_pk_fma_f32 v[24:25], -0.5, v[56:57], v[24:25] op_sel_hi:[0,1,1]
	v_pk_mul_f32 v[4:5], v[4:5], s[10:11] op_sel_hi:[1,0]
	s_mov_b32 s11, s14
	v_pk_add_f32 v[56:57], v[24:25], v[4:5] op_sel:[0,1] op_sel_hi:[1,0] neg_lo:[0,1] neg_hi:[0,1]
	v_pk_add_f32 v[24:25], v[24:25], v[4:5] op_sel:[0,1] op_sel_hi:[1,0]
	s_mov_b32 s15, s10
	v_pk_mul_f32 v[4:5], v[58:59], s[10:11] op_sel_hi:[0,1]
	v_pk_fma_f32 v[58:59], v[54:55], s[14:15], v[4:5] neg_lo:[0,0,1] neg_hi:[0,0,1]
	v_pk_fma_f32 v[4:5], v[54:55], s[14:15], v[4:5] op_sel_hi:[0,1,1]
	v_pk_add_f32 v[10:11], v[6:7], v[10:11]
	v_mov_b32_e32 v62, v56
	v_mov_b32_e32 v63, v25
	;; [unrolled: 1-line block ×3, first 2 shown]
	s_mov_b32 s6, -0.5
	v_lshlrev_b32_e32 v48, 3, v48
	v_pk_add_f32 v[6:7], v[26:27], v[10:11]
	v_pk_add_f32 v[8:9], v[62:63], v[58:59]
	s_mov_b32 s7, s10
	v_pk_mul_f32 v[4:5], v[60:61], s[10:11] op_sel_hi:[0,1]
	ds_write_b128 v48, v[6:9]
	v_pk_fma_f32 v[8:9], v[52:53], s[6:7], v[4:5] op_sel_hi:[0,1,1] neg_lo:[0,0,1] neg_hi:[0,0,1]
	v_mov_b32_e32 v25, v57
	v_pk_add_f32 v[4:5], v[24:25], v[8:9]
	v_pk_add_f32 v[6:7], v[26:27], v[10:11] neg_lo:[0,1] neg_hi:[0,1]
	ds_write_b128 v48, v[4:7] offset:16
	v_pk_add_f32 v[4:5], v[62:63], v[58:59] neg_lo:[0,1] neg_hi:[0,1]
	v_pk_add_f32 v[6:7], v[24:25], v[8:9] neg_lo:[0,1] neg_hi:[0,1]
	ds_write_b128 v48, v[4:7] offset:32
.LBB0_13:
	s_or_b64 exec, exec, s[4:5]
	s_waitcnt lgkmcnt(0)
	s_barrier
	ds_read2_b64 v[4:7], v46 offset1:162
	ds_read_b64 v[8:9], v46 offset:2592
	s_mov_b32 s4, 0x3f5db3d7
	s_waitcnt lgkmcnt(0)
	s_barrier
	v_pk_mul_f32 v[0:1], v[0:1], v[6:7]
	s_nop 0
	v_pk_fma_f32 v[10:11], v[44:45], v[6:7], v[0:1] op_sel:[0,0,1] op_sel_hi:[1,1,0]
	v_pk_fma_f32 v[0:1], v[44:45], v[6:7], v[0:1] op_sel:[0,0,1] op_sel_hi:[1,1,0] neg_lo:[0,0,1] neg_hi:[0,0,1]
	s_nop 0
	v_mov_b32_e32 v11, v1
	v_pk_mul_f32 v[0:1], v[2:3], v[8:9]
	s_nop 0
	v_pk_fma_f32 v[2:3], v[42:43], v[8:9], v[0:1] op_sel:[0,0,1] op_sel_hi:[1,1,0]
	v_pk_fma_f32 v[0:1], v[42:43], v[8:9], v[0:1] op_sel:[0,0,1] op_sel_hi:[1,1,0] neg_lo:[0,0,1] neg_hi:[0,0,1]
	s_nop 0
	v_mov_b32_e32 v3, v1
	v_pk_add_f32 v[0:1], v[4:5], v[10:11]
	v_pk_add_f32 v[6:7], v[10:11], v[2:3]
	;; [unrolled: 1-line block ×3, first 2 shown]
	v_pk_add_f32 v[2:3], v[10:11], v[2:3] neg_lo:[0,1] neg_hi:[0,1]
	v_pk_fma_f32 v[4:5], v[6:7], 0.5, v[4:5] op_sel_hi:[1,0,1] neg_lo:[1,0,0] neg_hi:[1,0,0]
	v_pk_mul_f32 v[2:3], v[2:3], s[4:5] op_sel_hi:[1,0]
	s_nop 0
	v_pk_add_f32 v[6:7], v[4:5], v[2:3] op_sel:[0,1] op_sel_hi:[1,0] neg_lo:[0,1] neg_hi:[0,1]
	v_pk_add_f32 v[2:3], v[4:5], v[2:3] op_sel:[0,1] op_sel_hi:[1,0]
	v_mov_b32_e32 v4, v6
	v_mov_b32_e32 v5, v3
	;; [unrolled: 1-line block ×3, first 2 shown]
	ds_write2_b64 v47, v[0:1], v[4:5] offset1:6
	ds_write_b64 v47, v[2:3] offset:96
	s_waitcnt lgkmcnt(0)
	s_barrier
	ds_read2_b64 v[0:3], v46 offset1:162
	ds_read_b64 v[4:5], v46 offset:2592
	s_waitcnt lgkmcnt(0)
	s_barrier
	v_pk_mul_f32 v[6:7], v[12:13], v[2:3]
	s_nop 0
	v_pk_fma_f32 v[8:9], v[40:41], v[2:3], v[6:7] op_sel:[0,0,1] op_sel_hi:[1,1,0]
	v_pk_fma_f32 v[2:3], v[40:41], v[2:3], v[6:7] op_sel:[0,0,1] op_sel_hi:[1,1,0] neg_lo:[0,0,1] neg_hi:[0,0,1]
	s_nop 0
	v_mov_b32_e32 v9, v3
	v_pk_mul_f32 v[2:3], v[14:15], v[4:5]
	s_nop 0
	v_pk_fma_f32 v[6:7], v[38:39], v[4:5], v[2:3] op_sel:[0,0,1] op_sel_hi:[1,1,0]
	v_pk_fma_f32 v[2:3], v[38:39], v[4:5], v[2:3] op_sel:[0,0,1] op_sel_hi:[1,1,0] neg_lo:[0,0,1] neg_hi:[0,0,1]
	s_nop 0
	v_mov_b32_e32 v7, v3
	v_pk_add_f32 v[4:5], v[8:9], v[6:7]
	v_pk_add_f32 v[2:3], v[0:1], v[8:9]
	v_pk_fma_f32 v[0:1], v[4:5], 0.5, v[0:1] op_sel_hi:[1,0,1] neg_lo:[1,0,0] neg_hi:[1,0,0]
	v_pk_add_f32 v[4:5], v[8:9], v[6:7] neg_lo:[0,1] neg_hi:[0,1]
	v_pk_add_f32 v[2:3], v[2:3], v[6:7]
	v_pk_mul_f32 v[4:5], v[4:5], s[4:5] op_sel_hi:[1,0]
	s_nop 0
	v_pk_add_f32 v[6:7], v[0:1], v[4:5] op_sel:[0,1] op_sel_hi:[1,0] neg_lo:[0,1] neg_hi:[0,1]
	v_pk_add_f32 v[0:1], v[0:1], v[4:5] op_sel:[0,1] op_sel_hi:[1,0]
	v_mov_b32_e32 v4, v6
	v_mov_b32_e32 v5, v1
	;; [unrolled: 1-line block ×3, first 2 shown]
	ds_write2_b64 v49, v[2:3], v[4:5] offset1:18
	ds_write_b64 v49, v[0:1] offset:288
	s_waitcnt lgkmcnt(0)
	s_barrier
	ds_read2_b64 v[0:3], v46 offset1:162
	ds_read_b64 v[4:5], v46 offset:2592
	s_waitcnt lgkmcnt(0)
	s_barrier
	v_pk_mul_f32 v[6:7], v[16:17], v[2:3]
	s_nop 0
	v_pk_fma_f32 v[8:9], v[36:37], v[2:3], v[6:7] op_sel:[0,0,1] op_sel_hi:[1,1,0]
	v_pk_fma_f32 v[2:3], v[36:37], v[2:3], v[6:7] op_sel:[0,0,1] op_sel_hi:[1,1,0] neg_lo:[0,0,1] neg_hi:[0,0,1]
	s_nop 0
	v_mov_b32_e32 v9, v3
	v_pk_mul_f32 v[2:3], v[18:19], v[4:5]
	s_nop 0
	v_pk_fma_f32 v[6:7], v[34:35], v[4:5], v[2:3] op_sel:[0,0,1] op_sel_hi:[1,1,0]
	v_pk_fma_f32 v[2:3], v[34:35], v[4:5], v[2:3] op_sel:[0,0,1] op_sel_hi:[1,1,0] neg_lo:[0,0,1] neg_hi:[0,0,1]
	s_nop 0
	v_mov_b32_e32 v7, v3
	v_pk_add_f32 v[4:5], v[8:9], v[6:7]
	v_pk_add_f32 v[2:3], v[0:1], v[8:9]
	v_pk_fma_f32 v[0:1], v[4:5], 0.5, v[0:1] op_sel_hi:[1,0,1] neg_lo:[1,0,0] neg_hi:[1,0,0]
	v_pk_add_f32 v[4:5], v[8:9], v[6:7] neg_lo:[0,1] neg_hi:[0,1]
	v_pk_add_f32 v[2:3], v[2:3], v[6:7]
	v_pk_mul_f32 v[4:5], v[4:5], s[4:5] op_sel_hi:[1,0]
	s_nop 0
	v_pk_add_f32 v[6:7], v[0:1], v[4:5] op_sel:[0,1] op_sel_hi:[1,0] neg_lo:[0,1] neg_hi:[0,1]
	v_pk_add_f32 v[0:1], v[0:1], v[4:5] op_sel:[0,1] op_sel_hi:[1,0]
	v_mov_b32_e32 v4, v6
	v_mov_b32_e32 v5, v1
	;; [unrolled: 1-line block ×3, first 2 shown]
	ds_write2_b64 v50, v[2:3], v[4:5] offset1:54
	ds_write_b64 v50, v[0:1] offset:864
	s_waitcnt lgkmcnt(0)
	s_barrier
	ds_read2_b64 v[0:3], v46 offset1:162
	ds_read_b64 v[4:5], v46 offset:2592
	s_waitcnt lgkmcnt(1)
	v_pk_mul_f32 v[6:7], v[20:21], v[2:3]
	s_nop 0
	v_pk_fma_f32 v[8:9], v[32:33], v[2:3], v[6:7] op_sel:[0,0,1] op_sel_hi:[1,1,0]
	v_pk_fma_f32 v[2:3], v[32:33], v[2:3], v[6:7] op_sel:[0,0,1] op_sel_hi:[1,1,0] neg_lo:[0,0,1] neg_hi:[0,0,1]
	s_nop 0
	v_mov_b32_e32 v9, v3
	s_waitcnt lgkmcnt(0)
	v_pk_mul_f32 v[2:3], v[22:23], v[4:5]
	s_nop 0
	v_pk_fma_f32 v[6:7], v[30:31], v[4:5], v[2:3] op_sel:[0,0,1] op_sel_hi:[1,1,0]
	v_pk_fma_f32 v[2:3], v[30:31], v[4:5], v[2:3] op_sel:[0,0,1] op_sel_hi:[1,1,0] neg_lo:[0,0,1] neg_hi:[0,0,1]
	s_nop 0
	v_mov_b32_e32 v7, v3
	v_pk_add_f32 v[4:5], v[8:9], v[6:7]
	v_pk_add_f32 v[2:3], v[0:1], v[8:9]
	v_pk_fma_f32 v[0:1], v[4:5], 0.5, v[0:1] op_sel_hi:[1,0,1] neg_lo:[1,0,0] neg_hi:[1,0,0]
	v_pk_add_f32 v[4:5], v[8:9], v[6:7] neg_lo:[0,1] neg_hi:[0,1]
	v_pk_add_f32 v[2:3], v[2:3], v[6:7]
	v_pk_mul_f32 v[4:5], v[4:5], s[4:5] op_sel_hi:[1,0]
	s_nop 0
	v_pk_add_f32 v[6:7], v[0:1], v[4:5] op_sel:[0,1] op_sel_hi:[1,0] neg_lo:[0,1] neg_hi:[0,1]
	v_pk_add_f32 v[0:1], v[0:1], v[4:5] op_sel:[0,1] op_sel_hi:[1,0]
	v_mov_b32_e32 v4, v6
	v_mov_b32_e32 v5, v1
	;; [unrolled: 1-line block ×3, first 2 shown]
	ds_write2_b64 v46, v[2:3], v[4:5] offset1:162
	ds_write_b64 v46, v[0:1] offset:2592
	s_waitcnt lgkmcnt(0)
	s_barrier
	s_and_b64 exec, exec, vcc
	s_cbranch_execz .LBB0_15
; %bb.14:
	global_load_dwordx2 v[8:9], v46, s[8:9]
	global_load_dwordx2 v[10:11], v46, s[8:9] offset:648
	global_load_dwordx2 v[12:13], v46, s[8:9] offset:1296
	;; [unrolled: 1-line block ×5, first 2 shown]
	v_mad_u64_u32 v[20:21], s[4:5], s2, v28, 0
	ds_read2_b64 v[0:3], v46 offset1:162
	v_mad_u64_u32 v[22:23], s[6:7], s0, v29, 0
	v_mov_b32_e32 v32, v21
	ds_read2_b64 v[4:7], v46 offset0:81 offset1:243
	v_mov_b32_e32 v35, 0x288
	v_mov_b32_e32 v34, v23
	v_mad_u64_u32 v[32:33], s[2:3], s3, v28, v[32:33]
	v_mov_b32_e32 v18, s12
	v_mov_b32_e32 v19, s13
	v_mad_u64_u32 v[28:29], s[2:3], s1, v29, v[34:35]
	v_mov_b32_e32 v21, v32
	ds_read_b64 v[26:27], v46 offset:2592
	ds_read_b64 v[30:31], v46 offset:3240
	v_mov_b32_e32 v23, v28
	v_lshl_add_u64 v[18:19], v[20:21], 3, v[18:19]
	v_lshl_add_u64 v[18:19], v[22:23], 3, v[18:19]
	s_mul_i32 s6, s1, 0x288
	v_mad_u64_u32 v[20:21], s[2:3], s0, v35, v[18:19]
	s_mov_b32 s4, 0xa88f4696
	v_add_u32_e32 v21, s6, v21
	s_mov_b32 s5, 0x3f60db20
	v_mad_u64_u32 v[22:23], s[2:3], s0, v35, v[20:21]
	v_add_u32_e32 v23, s6, v23
	v_mad_u64_u32 v[28:29], s[2:3], s0, v35, v[22:23]
	v_add_u32_e32 v29, s6, v29
	s_waitcnt vmcnt(5) lgkmcnt(3)
	v_mul_f32_e32 v32, v1, v9
	v_mul_f32_e32 v9, v0, v9
	s_waitcnt vmcnt(4) lgkmcnt(2)
	v_mul_f32_e32 v33, v5, v11
	v_mul_f32_e32 v11, v4, v11
	s_waitcnt vmcnt(3)
	v_mul_f32_e32 v34, v3, v13
	v_mul_f32_e32 v13, v2, v13
	s_waitcnt vmcnt(2)
	v_mul_f32_e32 v36, v7, v15
	v_mul_f32_e32 v15, v6, v15
	v_fmac_f32_e32 v32, v0, v8
	v_fma_f32 v8, v8, v1, -v9
	s_waitcnt vmcnt(1) lgkmcnt(1)
	v_mul_f32_e32 v37, v27, v17
	v_fmac_f32_e32 v33, v4, v10
	v_fma_f32 v9, v10, v5, -v11
	v_fmac_f32_e32 v34, v2, v12
	v_fma_f32 v10, v12, v3, -v13
	;; [unrolled: 2-line block ×3, first 2 shown]
	v_cvt_f64_f32_e32 v[0:1], v32
	v_cvt_f64_f32_e32 v[2:3], v8
	v_fmac_f32_e32 v37, v26, v16
	v_cvt_f64_f32_e32 v[4:5], v33
	v_cvt_f64_f32_e32 v[6:7], v9
	;; [unrolled: 1-line block ×6, first 2 shown]
	v_mul_f64 v[0:1], v[0:1], s[4:5]
	v_mul_f64 v[2:3], v[2:3], s[4:5]
	v_cvt_f64_f32_e32 v[32:33], v37
	v_mul_f64 v[4:5], v[4:5], s[4:5]
	v_mul_f64 v[6:7], v[6:7], s[4:5]
	;; [unrolled: 1-line block ×6, first 2 shown]
	v_cvt_f32_f64_e32 v0, v[0:1]
	v_cvt_f32_f64_e32 v1, v[2:3]
	;; [unrolled: 1-line block ×8, first 2 shown]
	global_store_dwordx2 v[18:19], v[0:1], off
	global_store_dwordx2 v[20:21], v[2:3], off
	;; [unrolled: 1-line block ×4, first 2 shown]
	v_mul_f64 v[0:1], v[32:33], s[4:5]
	v_cvt_f32_f64_e32 v0, v[0:1]
	v_mul_f32_e32 v1, v26, v17
	v_fma_f32 v1, v16, v27, -v1
	v_cvt_f64_f32_e32 v[2:3], v1
	v_mul_f64 v[2:3], v[2:3], s[4:5]
	v_cvt_f32_f64_e32 v1, v[2:3]
	v_mad_u64_u32 v[2:3], s[2:3], s0, v35, v[28:29]
	v_add_u32_e32 v3, s6, v3
	global_store_dwordx2 v[2:3], v[0:1], off
	s_waitcnt vmcnt(5) lgkmcnt(0)
	v_mul_f32_e32 v0, v31, v25
	v_fmac_f32_e32 v0, v30, v24
	v_cvt_f64_f32_e32 v[0:1], v0
	v_mul_f64 v[0:1], v[0:1], s[4:5]
	v_cvt_f32_f64_e32 v0, v[0:1]
	v_mul_f32_e32 v1, v30, v25
	v_fma_f32 v1, v24, v31, -v1
	v_cvt_f64_f32_e32 v[4:5], v1
	v_mul_f64 v[4:5], v[4:5], s[4:5]
	v_mad_u64_u32 v[2:3], s[0:1], s0, v35, v[2:3]
	v_cvt_f32_f64_e32 v1, v[4:5]
	v_add_u32_e32 v3, s6, v3
	global_store_dwordx2 v[2:3], v[0:1], off
.LBB0_15:
	s_endpgm
	.section	.rodata,"a",@progbits
	.p2align	6, 0x0
	.amdhsa_kernel bluestein_single_back_len486_dim1_sp_op_CI_CI
		.amdhsa_group_segment_fixed_size 3888
		.amdhsa_private_segment_fixed_size 0
		.amdhsa_kernarg_size 104
		.amdhsa_user_sgpr_count 2
		.amdhsa_user_sgpr_dispatch_ptr 0
		.amdhsa_user_sgpr_queue_ptr 0
		.amdhsa_user_sgpr_kernarg_segment_ptr 1
		.amdhsa_user_sgpr_dispatch_id 0
		.amdhsa_user_sgpr_kernarg_preload_length 0
		.amdhsa_user_sgpr_kernarg_preload_offset 0
		.amdhsa_user_sgpr_private_segment_size 0
		.amdhsa_uses_dynamic_stack 0
		.amdhsa_enable_private_segment 0
		.amdhsa_system_sgpr_workgroup_id_x 1
		.amdhsa_system_sgpr_workgroup_id_y 0
		.amdhsa_system_sgpr_workgroup_id_z 0
		.amdhsa_system_sgpr_workgroup_info 0
		.amdhsa_system_vgpr_workitem_id 0
		.amdhsa_next_free_vgpr 64
		.amdhsa_next_free_sgpr 16
		.amdhsa_accum_offset 64
		.amdhsa_reserve_vcc 1
		.amdhsa_float_round_mode_32 0
		.amdhsa_float_round_mode_16_64 0
		.amdhsa_float_denorm_mode_32 3
		.amdhsa_float_denorm_mode_16_64 3
		.amdhsa_dx10_clamp 1
		.amdhsa_ieee_mode 1
		.amdhsa_fp16_overflow 0
		.amdhsa_tg_split 0
		.amdhsa_exception_fp_ieee_invalid_op 0
		.amdhsa_exception_fp_denorm_src 0
		.amdhsa_exception_fp_ieee_div_zero 0
		.amdhsa_exception_fp_ieee_overflow 0
		.amdhsa_exception_fp_ieee_underflow 0
		.amdhsa_exception_fp_ieee_inexact 0
		.amdhsa_exception_int_div_zero 0
	.end_amdhsa_kernel
	.text
.Lfunc_end0:
	.size	bluestein_single_back_len486_dim1_sp_op_CI_CI, .Lfunc_end0-bluestein_single_back_len486_dim1_sp_op_CI_CI
                                        ; -- End function
	.section	.AMDGPU.csdata,"",@progbits
; Kernel info:
; codeLenInByte = 4152
; NumSgprs: 22
; NumVgprs: 64
; NumAgprs: 0
; TotalNumVgprs: 64
; ScratchSize: 0
; MemoryBound: 0
; FloatMode: 240
; IeeeMode: 1
; LDSByteSize: 3888 bytes/workgroup (compile time only)
; SGPRBlocks: 2
; VGPRBlocks: 7
; NumSGPRsForWavesPerEU: 22
; NumVGPRsForWavesPerEU: 64
; AccumOffset: 64
; Occupancy: 8
; WaveLimiterHint : 1
; COMPUTE_PGM_RSRC2:SCRATCH_EN: 0
; COMPUTE_PGM_RSRC2:USER_SGPR: 2
; COMPUTE_PGM_RSRC2:TRAP_HANDLER: 0
; COMPUTE_PGM_RSRC2:TGID_X_EN: 1
; COMPUTE_PGM_RSRC2:TGID_Y_EN: 0
; COMPUTE_PGM_RSRC2:TGID_Z_EN: 0
; COMPUTE_PGM_RSRC2:TIDIG_COMP_CNT: 0
; COMPUTE_PGM_RSRC3_GFX90A:ACCUM_OFFSET: 15
; COMPUTE_PGM_RSRC3_GFX90A:TG_SPLIT: 0
	.text
	.p2alignl 6, 3212836864
	.fill 256, 4, 3212836864
	.type	__hip_cuid_3e649893e20c7cdc,@object ; @__hip_cuid_3e649893e20c7cdc
	.section	.bss,"aw",@nobits
	.globl	__hip_cuid_3e649893e20c7cdc
__hip_cuid_3e649893e20c7cdc:
	.byte	0                               ; 0x0
	.size	__hip_cuid_3e649893e20c7cdc, 1

	.ident	"AMD clang version 19.0.0git (https://github.com/RadeonOpenCompute/llvm-project roc-6.4.0 25133 c7fe45cf4b819c5991fe208aaa96edf142730f1d)"
	.section	".note.GNU-stack","",@progbits
	.addrsig
	.addrsig_sym __hip_cuid_3e649893e20c7cdc
	.amdgpu_metadata
---
amdhsa.kernels:
  - .agpr_count:     0
    .args:
      - .actual_access:  read_only
        .address_space:  global
        .offset:         0
        .size:           8
        .value_kind:     global_buffer
      - .actual_access:  read_only
        .address_space:  global
        .offset:         8
        .size:           8
        .value_kind:     global_buffer
      - .actual_access:  read_only
        .address_space:  global
        .offset:         16
        .size:           8
        .value_kind:     global_buffer
      - .actual_access:  read_only
        .address_space:  global
        .offset:         24
        .size:           8
        .value_kind:     global_buffer
      - .actual_access:  read_only
        .address_space:  global
        .offset:         32
        .size:           8
        .value_kind:     global_buffer
      - .offset:         40
        .size:           8
        .value_kind:     by_value
      - .address_space:  global
        .offset:         48
        .size:           8
        .value_kind:     global_buffer
      - .address_space:  global
        .offset:         56
        .size:           8
        .value_kind:     global_buffer
      - .address_space:  global
        .offset:         64
        .size:           8
        .value_kind:     global_buffer
      - .address_space:  global
        .offset:         72
        .size:           8
        .value_kind:     global_buffer
      - .offset:         80
        .size:           4
        .value_kind:     by_value
      - .address_space:  global
        .offset:         88
        .size:           8
        .value_kind:     global_buffer
      - .address_space:  global
        .offset:         96
        .size:           8
        .value_kind:     global_buffer
    .group_segment_fixed_size: 3888
    .kernarg_segment_align: 8
    .kernarg_segment_size: 104
    .language:       OpenCL C
    .language_version:
      - 2
      - 0
    .max_flat_workgroup_size: 162
    .name:           bluestein_single_back_len486_dim1_sp_op_CI_CI
    .private_segment_fixed_size: 0
    .sgpr_count:     22
    .sgpr_spill_count: 0
    .symbol:         bluestein_single_back_len486_dim1_sp_op_CI_CI.kd
    .uniform_work_group_size: 1
    .uses_dynamic_stack: false
    .vgpr_count:     64
    .vgpr_spill_count: 0
    .wavefront_size: 64
amdhsa.target:   amdgcn-amd-amdhsa--gfx950
amdhsa.version:
  - 1
  - 2
...

	.end_amdgpu_metadata
